;; amdgpu-corpus repo=ROCm/rocFFT kind=compiled arch=gfx1030 opt=O3
	.text
	.amdgcn_target "amdgcn-amd-amdhsa--gfx1030"
	.amdhsa_code_object_version 6
	.protected	fft_rtc_fwd_len680_factors_17_4_10_wgs_204_tpt_68_halfLds_half_op_CI_CI_unitstride_sbrr_dirReg ; -- Begin function fft_rtc_fwd_len680_factors_17_4_10_wgs_204_tpt_68_halfLds_half_op_CI_CI_unitstride_sbrr_dirReg
	.globl	fft_rtc_fwd_len680_factors_17_4_10_wgs_204_tpt_68_halfLds_half_op_CI_CI_unitstride_sbrr_dirReg
	.p2align	8
	.type	fft_rtc_fwd_len680_factors_17_4_10_wgs_204_tpt_68_halfLds_half_op_CI_CI_unitstride_sbrr_dirReg,@function
fft_rtc_fwd_len680_factors_17_4_10_wgs_204_tpt_68_halfLds_half_op_CI_CI_unitstride_sbrr_dirReg: ; @fft_rtc_fwd_len680_factors_17_4_10_wgs_204_tpt_68_halfLds_half_op_CI_CI_unitstride_sbrr_dirReg
; %bb.0:
	s_load_dwordx4 s[12:15], s[4:5], 0x0
	v_mul_u32_u24_e32 v1, 0x3c4, v0
	s_clause 0x1
	s_load_dwordx4 s[8:11], s[4:5], 0x58
	s_load_dwordx4 s[16:19], s[4:5], 0x18
	v_mov_b32_e32 v5, 0
	v_mov_b32_e32 v3, 0
	;; [unrolled: 1-line block ×3, first 2 shown]
	v_lshrrev_b32_e32 v1, 16, v1
	v_mov_b32_e32 v12, v4
	v_mad_u64_u32 v[1:2], null, s6, 3, v[1:2]
	v_mov_b32_e32 v2, v5
	v_mov_b32_e32 v11, v3
	;; [unrolled: 1-line block ×4, first 2 shown]
	s_waitcnt lgkmcnt(0)
	v_cmp_lt_u64_e64 s0, s[14:15], 2
	s_and_b32 vcc_lo, exec_lo, s0
	s_cbranch_vccnz .LBB0_8
; %bb.1:
	s_load_dwordx2 s[0:1], s[4:5], 0x10
	v_mov_b32_e32 v3, 0
	v_mov_b32_e32 v4, 0
	s_add_u32 s2, s18, 8
	v_mov_b32_e32 v8, v2
	s_addc_u32 s3, s19, 0
	v_mov_b32_e32 v7, v1
	v_mov_b32_e32 v12, v4
	s_add_u32 s6, s16, 8
	v_mov_b32_e32 v11, v3
	s_addc_u32 s7, s17, 0
	s_mov_b64 s[22:23], 1
	s_waitcnt lgkmcnt(0)
	s_add_u32 s20, s0, 8
	s_addc_u32 s21, s1, 0
.LBB0_2:                                ; =>This Inner Loop Header: Depth=1
	s_load_dwordx2 s[24:25], s[20:21], 0x0
                                        ; implicit-def: $vgpr13_vgpr14
	s_mov_b32 s0, exec_lo
	s_waitcnt lgkmcnt(0)
	v_or_b32_e32 v6, s25, v8
	v_cmpx_ne_u64_e32 0, v[5:6]
	s_xor_b32 s1, exec_lo, s0
	s_cbranch_execz .LBB0_4
; %bb.3:                                ;   in Loop: Header=BB0_2 Depth=1
	v_cvt_f32_u32_e32 v2, s24
	v_cvt_f32_u32_e32 v6, s25
	s_sub_u32 s0, 0, s24
	s_subb_u32 s26, 0, s25
	v_fmac_f32_e32 v2, 0x4f800000, v6
	v_rcp_f32_e32 v2, v2
	v_mul_f32_e32 v2, 0x5f7ffffc, v2
	v_mul_f32_e32 v6, 0x2f800000, v2
	v_trunc_f32_e32 v6, v6
	v_fmac_f32_e32 v2, 0xcf800000, v6
	v_cvt_u32_f32_e32 v6, v6
	v_cvt_u32_f32_e32 v2, v2
	v_mul_lo_u32 v9, s0, v6
	v_mul_hi_u32 v10, s0, v2
	v_mul_lo_u32 v13, s26, v2
	v_add_nc_u32_e32 v9, v10, v9
	v_mul_lo_u32 v10, s0, v2
	v_add_nc_u32_e32 v9, v9, v13
	v_mul_hi_u32 v13, v2, v10
	v_mul_lo_u32 v14, v2, v9
	v_mul_hi_u32 v15, v2, v9
	v_mul_hi_u32 v16, v6, v10
	v_mul_lo_u32 v10, v6, v10
	v_mul_hi_u32 v17, v6, v9
	v_mul_lo_u32 v9, v6, v9
	v_add_co_u32 v13, vcc_lo, v13, v14
	v_add_co_ci_u32_e32 v14, vcc_lo, 0, v15, vcc_lo
	v_add_co_u32 v10, vcc_lo, v13, v10
	v_add_co_ci_u32_e32 v10, vcc_lo, v14, v16, vcc_lo
	v_add_co_ci_u32_e32 v13, vcc_lo, 0, v17, vcc_lo
	v_add_co_u32 v9, vcc_lo, v10, v9
	v_add_co_ci_u32_e32 v10, vcc_lo, 0, v13, vcc_lo
	v_add_co_u32 v2, vcc_lo, v2, v9
	v_add_co_ci_u32_e32 v6, vcc_lo, v6, v10, vcc_lo
	v_mul_hi_u32 v9, s0, v2
	v_mul_lo_u32 v13, s26, v2
	v_mul_lo_u32 v10, s0, v6
	v_add_nc_u32_e32 v9, v9, v10
	v_mul_lo_u32 v10, s0, v2
	v_add_nc_u32_e32 v9, v9, v13
	v_mul_hi_u32 v13, v2, v10
	v_mul_lo_u32 v14, v2, v9
	v_mul_hi_u32 v15, v2, v9
	v_mul_hi_u32 v16, v6, v10
	v_mul_lo_u32 v10, v6, v10
	v_mul_hi_u32 v17, v6, v9
	v_mul_lo_u32 v9, v6, v9
	v_add_co_u32 v13, vcc_lo, v13, v14
	v_add_co_ci_u32_e32 v14, vcc_lo, 0, v15, vcc_lo
	v_add_co_u32 v10, vcc_lo, v13, v10
	v_add_co_ci_u32_e32 v10, vcc_lo, v14, v16, vcc_lo
	v_add_co_ci_u32_e32 v13, vcc_lo, 0, v17, vcc_lo
	v_add_co_u32 v9, vcc_lo, v10, v9
	v_add_co_ci_u32_e32 v10, vcc_lo, 0, v13, vcc_lo
	v_add_co_u32 v2, vcc_lo, v2, v9
	v_add_co_ci_u32_e32 v6, vcc_lo, v6, v10, vcc_lo
	v_mul_hi_u32 v17, v7, v2
	v_mad_u64_u32 v[13:14], null, v8, v2, 0
	v_mad_u64_u32 v[9:10], null, v7, v6, 0
	;; [unrolled: 1-line block ×3, first 2 shown]
	v_add_co_u32 v2, vcc_lo, v17, v9
	v_add_co_ci_u32_e32 v6, vcc_lo, 0, v10, vcc_lo
	v_add_co_u32 v2, vcc_lo, v2, v13
	v_add_co_ci_u32_e32 v2, vcc_lo, v6, v14, vcc_lo
	v_add_co_ci_u32_e32 v6, vcc_lo, 0, v16, vcc_lo
	v_add_co_u32 v2, vcc_lo, v2, v15
	v_add_co_ci_u32_e32 v6, vcc_lo, 0, v6, vcc_lo
	v_mul_lo_u32 v13, s25, v2
	v_mad_u64_u32 v[9:10], null, s24, v2, 0
	v_mul_lo_u32 v14, s24, v6
	v_sub_co_u32 v9, vcc_lo, v7, v9
	v_add3_u32 v10, v10, v14, v13
	v_sub_nc_u32_e32 v13, v8, v10
	v_subrev_co_ci_u32_e64 v13, s0, s25, v13, vcc_lo
	v_add_co_u32 v14, s0, v2, 2
	v_add_co_ci_u32_e64 v15, s0, 0, v6, s0
	v_sub_co_u32 v16, s0, v9, s24
	v_sub_co_ci_u32_e32 v10, vcc_lo, v8, v10, vcc_lo
	v_subrev_co_ci_u32_e64 v13, s0, 0, v13, s0
	v_cmp_le_u32_e32 vcc_lo, s24, v16
	v_cmp_eq_u32_e64 s0, s25, v10
	v_cndmask_b32_e64 v16, 0, -1, vcc_lo
	v_cmp_le_u32_e32 vcc_lo, s25, v13
	v_cndmask_b32_e64 v17, 0, -1, vcc_lo
	v_cmp_le_u32_e32 vcc_lo, s24, v9
	;; [unrolled: 2-line block ×3, first 2 shown]
	v_cndmask_b32_e64 v18, 0, -1, vcc_lo
	v_cmp_eq_u32_e32 vcc_lo, s25, v13
	v_cndmask_b32_e64 v9, v18, v9, s0
	v_cndmask_b32_e32 v13, v17, v16, vcc_lo
	v_add_co_u32 v16, vcc_lo, v2, 1
	v_add_co_ci_u32_e32 v17, vcc_lo, 0, v6, vcc_lo
	v_cmp_ne_u32_e32 vcc_lo, 0, v13
	v_cndmask_b32_e32 v10, v17, v15, vcc_lo
	v_cndmask_b32_e32 v13, v16, v14, vcc_lo
	v_cmp_ne_u32_e32 vcc_lo, 0, v9
	v_cndmask_b32_e32 v14, v6, v10, vcc_lo
	v_cndmask_b32_e32 v13, v2, v13, vcc_lo
.LBB0_4:                                ;   in Loop: Header=BB0_2 Depth=1
	s_andn2_saveexec_b32 s0, s1
	s_cbranch_execz .LBB0_6
; %bb.5:                                ;   in Loop: Header=BB0_2 Depth=1
	v_cvt_f32_u32_e32 v2, s24
	s_sub_i32 s1, 0, s24
	v_mov_b32_e32 v14, v5
	v_rcp_iflag_f32_e32 v2, v2
	v_mul_f32_e32 v2, 0x4f7ffffe, v2
	v_cvt_u32_f32_e32 v2, v2
	v_mul_lo_u32 v6, s1, v2
	v_mul_hi_u32 v6, v2, v6
	v_add_nc_u32_e32 v2, v2, v6
	v_mul_hi_u32 v2, v7, v2
	v_mul_lo_u32 v6, v2, s24
	v_add_nc_u32_e32 v9, 1, v2
	v_sub_nc_u32_e32 v6, v7, v6
	v_subrev_nc_u32_e32 v10, s24, v6
	v_cmp_le_u32_e32 vcc_lo, s24, v6
	v_cndmask_b32_e32 v6, v6, v10, vcc_lo
	v_cndmask_b32_e32 v2, v2, v9, vcc_lo
	v_cmp_le_u32_e32 vcc_lo, s24, v6
	v_add_nc_u32_e32 v9, 1, v2
	v_cndmask_b32_e32 v13, v2, v9, vcc_lo
.LBB0_6:                                ;   in Loop: Header=BB0_2 Depth=1
	s_or_b32 exec_lo, exec_lo, s0
	v_mul_lo_u32 v2, v14, s24
	v_mul_lo_u32 v6, v13, s25
	s_load_dwordx2 s[0:1], s[6:7], 0x0
	v_mad_u64_u32 v[9:10], null, v13, s24, 0
	s_load_dwordx2 s[24:25], s[2:3], 0x0
	s_add_u32 s22, s22, 1
	s_addc_u32 s23, s23, 0
	s_add_u32 s2, s2, 8
	s_addc_u32 s3, s3, 0
	s_add_u32 s6, s6, 8
	v_add3_u32 v2, v10, v6, v2
	v_sub_co_u32 v6, vcc_lo, v7, v9
	s_addc_u32 s7, s7, 0
	s_add_u32 s20, s20, 8
	v_sub_co_ci_u32_e32 v2, vcc_lo, v8, v2, vcc_lo
	s_addc_u32 s21, s21, 0
	s_waitcnt lgkmcnt(0)
	v_mul_lo_u32 v7, s0, v2
	v_mul_lo_u32 v8, s1, v6
	v_mad_u64_u32 v[3:4], null, s0, v6, v[3:4]
	v_mul_lo_u32 v2, s24, v2
	v_mul_lo_u32 v9, s25, v6
	v_mad_u64_u32 v[11:12], null, s24, v6, v[11:12]
	v_cmp_ge_u64_e64 s0, s[22:23], s[14:15]
	v_add3_u32 v4, v8, v4, v7
	v_add3_u32 v12, v9, v12, v2
	s_and_b32 vcc_lo, exec_lo, s0
	s_cbranch_vccnz .LBB0_8
; %bb.7:                                ;   in Loop: Header=BB0_2 Depth=1
	v_mov_b32_e32 v7, v13
	v_mov_b32_e32 v8, v14
	s_branch .LBB0_2
.LBB0_8:
	s_load_dwordx2 s[0:1], s[4:5], 0x28
	s_lshl_b64 s[4:5], s[14:15], 3
	v_mul_hi_u32 v2, 0x3c3c3c4, v0
	s_add_u32 s2, s18, s4
	s_addc_u32 s3, s19, s5
	v_mov_b32_e32 v16, 0
	s_load_dwordx2 s[2:3], s[2:3], 0x0
	v_mov_b32_e32 v21, 0
                                        ; implicit-def: $vgpr31
                                        ; implicit-def: $vgpr45
                                        ; implicit-def: $vgpr30
                                        ; implicit-def: $vgpr43
                                        ; implicit-def: $vgpr29
                                        ; implicit-def: $vgpr41
                                        ; implicit-def: $vgpr28
                                        ; implicit-def: $vgpr39
                                        ; implicit-def: $vgpr27
                                        ; implicit-def: $vgpr38
                                        ; implicit-def: $vgpr26
                                        ; implicit-def: $vgpr36
                                        ; implicit-def: $vgpr25
                                        ; implicit-def: $vgpr34
                                        ; implicit-def: $vgpr24
                                        ; implicit-def: $vgpr32
                                        ; implicit-def: $vgpr23
                                        ; implicit-def: $vgpr33
                                        ; implicit-def: $vgpr10
                                        ; implicit-def: $vgpr35
                                        ; implicit-def: $vgpr9
                                        ; implicit-def: $vgpr37
                                        ; implicit-def: $vgpr47
                                        ; implicit-def: $vgpr46
                                        ; implicit-def: $vgpr6
                                        ; implicit-def: $vgpr44
                                        ; implicit-def: $vgpr7
                                        ; implicit-def: $vgpr42
                                        ; implicit-def: $vgpr8
                                        ; implicit-def: $vgpr40
	v_mul_u32_u24_e32 v5, 0x44, v2
	v_mov_b32_e32 v2, 0
	v_sub_nc_u32_e32 v15, v0, v5
                                        ; implicit-def: $vgpr0
                                        ; implicit-def: $vgpr5
	s_waitcnt lgkmcnt(0)
	v_cmp_gt_u64_e32 vcc_lo, s[0:1], v[13:14]
	s_and_saveexec_b32 s1, vcc_lo
	s_cbranch_execz .LBB0_12
; %bb.9:
	v_cmp_gt_u32_e64 s0, 40, v15
	v_mov_b32_e32 v21, 0
	v_mov_b32_e32 v2, 0
                                        ; implicit-def: $vgpr40
                                        ; implicit-def: $vgpr8
                                        ; implicit-def: $vgpr42
                                        ; implicit-def: $vgpr7
                                        ; implicit-def: $vgpr44
                                        ; implicit-def: $vgpr6
                                        ; implicit-def: $vgpr46
                                        ; implicit-def: $vgpr5
                                        ; implicit-def: $vgpr47
                                        ; implicit-def: $vgpr0
                                        ; implicit-def: $vgpr37
                                        ; implicit-def: $vgpr9
                                        ; implicit-def: $vgpr35
                                        ; implicit-def: $vgpr10
                                        ; implicit-def: $vgpr33
                                        ; implicit-def: $vgpr23
                                        ; implicit-def: $vgpr32
                                        ; implicit-def: $vgpr24
                                        ; implicit-def: $vgpr34
                                        ; implicit-def: $vgpr25
                                        ; implicit-def: $vgpr36
                                        ; implicit-def: $vgpr26
                                        ; implicit-def: $vgpr38
                                        ; implicit-def: $vgpr27
                                        ; implicit-def: $vgpr39
                                        ; implicit-def: $vgpr28
                                        ; implicit-def: $vgpr41
                                        ; implicit-def: $vgpr29
                                        ; implicit-def: $vgpr43
                                        ; implicit-def: $vgpr30
                                        ; implicit-def: $vgpr45
                                        ; implicit-def: $vgpr31
	s_and_saveexec_b32 s6, s0
	s_cbranch_execz .LBB0_11
; %bb.10:
	s_add_u32 s4, s16, s4
	s_addc_u32 s5, s17, s5
	v_mov_b32_e32 v16, 0
	s_load_dwordx2 s[4:5], s[4:5], 0x0
	v_lshlrev_b64 v[7:8], 2, v[15:16]
	s_waitcnt lgkmcnt(0)
	v_mul_lo_u32 v0, s5, v13
	v_mul_lo_u32 v2, s4, v14
	v_mad_u64_u32 v[5:6], null, s4, v13, 0
	v_add3_u32 v6, v6, v2, v0
	v_lshlrev_b64 v[2:3], 2, v[3:4]
	v_or_b32_e32 v4, 0x280, v15
	v_lshlrev_b64 v[5:6], 2, v[5:6]
	v_add_co_u32 v0, s0, s8, v5
	v_add_co_ci_u32_e64 v6, s0, s9, v6, s0
	v_mov_b32_e32 v5, v16
	v_add_co_u32 v0, s0, v0, v2
	v_add_co_ci_u32_e64 v6, s0, v6, v3, s0
	v_lshlrev_b64 v[2:3], 2, v[4:5]
	v_add_co_u32 v4, s0, v0, v7
	v_add_co_ci_u32_e64 v5, s0, v6, v8, s0
	s_clause 0x7
	global_load_dword v21, v[4:5], off
	global_load_dword v45, v[4:5], off offset:160
	global_load_dword v43, v[4:5], off offset:320
	;; [unrolled: 1-line block ×7, first 2 shown]
	v_add_co_u32 v2, s0, v0, v2
	v_add_co_ci_u32_e64 v3, s0, v6, v3, s0
	v_add_co_u32 v6, s0, 0x800, v4
	v_add_co_ci_u32_e64 v7, s0, 0, v5, s0
	s_clause 0x8
	global_load_dword v32, v[4:5], off offset:1280
	global_load_dword v33, v[4:5], off offset:1440
	;; [unrolled: 1-line block ×8, first 2 shown]
	global_load_dword v47, v[2:3], off
	s_waitcnt vmcnt(16)
	v_lshrrev_b32_e32 v2, 16, v21
	s_waitcnt vmcnt(15)
	v_lshrrev_b32_e32 v31, 16, v45
	;; [unrolled: 2-line block ×17, first 2 shown]
.LBB0_11:
	s_or_b32 exec_lo, exec_lo, s6
	v_mov_b32_e32 v16, v15
.LBB0_12:
	s_or_b32 exec_lo, exec_lo, s1
	v_add_f16_e32 v59, v45, v47
	v_sub_f16_e32 v60, v31, v0
	v_add_f16_e32 v56, v43, v46
	v_sub_f16_e32 v52, v30, v5
	v_add_f16_e32 v51, v41, v44
	v_mul_f16_e32 v61, 0xb8d2, v59
	v_sub_f16_e32 v50, v29, v6
	v_mul_f16_e32 v54, 0xb461, v56
	v_add_f16_e32 v22, v39, v42
	v_mul_f16_e32 v53, 0x3b76, v51
	v_fmamk_f16 v3, v60, 0xba62, v61
	v_sub_f16_e32 v49, v28, v7
	v_fmamk_f16 v18, v52, 0x3bb2, v54
	v_add_f16_e32 v4, v38, v40
	v_mul_f16_e32 v55, 0xbacd, v22
	v_add_f16_e32 v19, v21, v3
	v_fmamk_f16 v20, v50, 0xb5c8, v53
	v_mul_hi_u32 v17, 0xaaaaaaab, v1
	v_sub_f16_e32 v48, v27, v8
	v_add_f16_e32 v3, v36, v37
	v_add_f16_e32 v18, v19, v18
	v_pk_mul_f16 v19, 0xbacdbbdd, v59 op_sel_hi:[1,0]
	v_mul_f16_e32 v57, 0x2de8, v4
	v_fmamk_f16 v58, v49, 0xb836, v55
	v_sub_f16_e32 v62, v26, v9
	v_add_f16_e32 v18, v18, v20
	v_lshrrev_b32_e32 v17, 1, v17
	v_pk_mul_f16 v20, 0x37223b76, v56 op_sel_hi:[1,0]
	v_pk_fma_f16 v63, 0xb836b1e1, v60, v19 op_sel_hi:[1,0,1]
	v_fmamk_f16 v64, v48, 0x3bf7, v57
	v_add_f16_e32 v18, v18, v58
	v_mul_f16_e32 v58, 0x39e9, v3
	v_pk_fma_f16 v72, 0xb836b1e1, v60, v19 op_sel_hi:[1,0,1] neg_lo:[0,1,0] neg_hi:[0,1,0]
	v_lshl_add_u32 v17, v17, 1, v17
	v_pk_fma_f16 v65, 0x3b2935c8, v52, v20 op_sel_hi:[1,0,1]
	v_pk_add_f16 v63, v21, v63 op_sel_hi:[0,1]
	v_add_f16_e32 v18, v18, v64
	v_fmamk_f16 v66, v62, 0xb964, v58
	v_pk_mul_f16 v19, 0x2de8bacd, v51 op_sel_hi:[1,0]
	v_pk_fma_f16 v71, 0x3b2935c8, v52, v20 op_sel_hi:[1,0,1] neg_lo:[0,1,0] neg_hi:[0,1,0]
	v_add_f16_e32 v20, v21, v72
	v_sub_nc_u32_e32 v17, v1, v17
	v_pk_add_f16 v1, v63, v65
	v_add_f16_e32 v18, v66, v18
	v_pk_fma_f16 v66, 0xbbf7b836, v50, v19 op_sel_hi:[1,0,1]
	v_pk_mul_f16 v67, 0xb8d239e9, v22 op_sel_hi:[1,0]
	v_add_f16_e32 v20, v20, v71
	v_pk_fma_f16 v73, 0xbbf7b836, v50, v19 op_sel_hi:[1,0,1] neg_lo:[0,1,0] neg_hi:[0,1,0]
	v_pk_mul_f16 v69, 0x3b76b8d2, v4 op_sel_hi:[1,0]
	v_pk_add_f16 v1, v1, v66
	v_pk_fma_f16 v68, 0x3a623964, v49, v67 op_sel_hi:[1,0,1]
	v_pk_fma_f16 v74, 0x3a623964, v49, v67 op_sel_hi:[1,0,1] neg_lo:[0,1,0] neg_hi:[0,1,0]
	v_add_f16_e32 v20, v20, v73
	v_add_f16_e32 v64, v34, v35
	v_pk_mul_f16 v70, 0xbbdd3722, v3 op_sel_hi:[1,0]
	v_pk_add_f16 v1, v1, v68
	v_pk_fma_f16 v68, 0xb5c8ba62, v48, v69 op_sel_hi:[1,0,1]
	v_add_f16_e32 v20, v20, v74
	v_pk_fma_f16 v75, 0xb5c8ba62, v48, v69 op_sel_hi:[1,0,1] neg_lo:[0,1,0] neg_hi:[0,1,0]
	v_sub_f16_e32 v65, v25, v10
	v_mul_f16_e32 v63, 0xbbdd, v64
	v_add_f16_e32 v66, v32, v33
	v_sub_f16_e32 v67, v24, v23
	v_pk_add_f16 v68, v1, v68
	v_pk_fma_f16 v69, 0xb1e13b29, v62, v70 op_sel_hi:[1,0,1]
	v_pk_mul_f16 v76, 0x39e9b461, v64 op_sel_hi:[1,0]
	v_add_f16_e32 v20, v20, v75
	v_pk_fma_f16 v70, 0xb1e13b29, v62, v70 op_sel_hi:[1,0,1] neg_lo:[0,1,0] neg_hi:[0,1,0]
	v_fmamk_f16 v19, v65, 0xb1e1, v63
	v_mul_f16_e32 v1, 0x3722, v66
	v_pk_add_f16 v69, v69, v68
	v_pk_fma_f16 v77, 0x3964bbb2, v65, v76 op_sel_hi:[1,0,1]
	v_pk_mul_f16 v78, 0xbbb23bf7, v67 op_sel_hi:[1,0]
	v_add_f16_e32 v20, v70, v20
	v_pk_fma_f16 v68, 0x3964bbb2, v65, v76 op_sel_hi:[1,0,1] neg_lo:[0,1,0] neg_hi:[0,1,0]
	v_add_f16_e32 v18, v19, v18
	v_fmamk_f16 v19, v67, 0x3b29, v1
	v_pk_add_f16 v76, v77, v69
	v_pk_fma_f16 v77, 0xb4612de8, v66, v78 op_sel_hi:[1,0,1]
	v_add_f16_e32 v79, v68, v20
	v_pk_fma_f16 v69, 0xb4612de8, v66, v78 op_sel_hi:[1,0,1] neg_lo:[0,0,1] neg_hi:[0,0,1]
	v_mul_u32_u24_e32 v17, 0x2a8, v17
	v_add_f16_e32 v19, v19, v18
	v_pk_add_f16 v20, v77, v76
	v_cmp_gt_u32_e64 s1, 40, v15
	v_add_f16_e32 v18, v69, v79
	v_lshlrev_b32_e32 v17, 1, v17
	s_and_saveexec_b32 s0, s1
	s_cbranch_execz .LBB0_14
; %bb.13:
	v_add_f16_sdwa v72, v21, v72 dst_sel:DWORD dst_unused:UNUSED_PAD src0_sel:DWORD src1_sel:WORD_1
	v_pack_b32_f16 v77, v60, v60
	v_pack_b32_f16 v76, v59, v59
	v_perm_b32 v78, v21, v21, 0x5040100
	v_pack_b32_f16 v79, v56, v56
	v_add_f16_sdwa v71, v72, v71 dst_sel:DWORD dst_unused:UNUSED_PAD src0_sel:DWORD src1_sel:WORD_1
	v_pack_b32_f16 v72, v52, v52
	v_pk_mul_f16 v89, 0xb964b5c8, v77
	v_pack_b32_f16 v81, v50, v50
	v_pack_b32_f16 v80, v51, v51
	v_add_f16_sdwa v71, v71, v73 dst_sel:DWORD dst_unused:UNUSED_PAD src0_sel:DWORD src1_sel:WORD_1
	v_pack_b32_f16 v73, v49, v49
	v_fmamk_f16 v92, v76, 0x3b76, v89
	v_pk_fma_f16 v89, 0x39e93b76, v76, v89 neg_lo:[0,0,1] neg_hi:[0,0,1]
	v_pk_mul_f16 v90, 0xbbf7bb29, v77
	v_add_f16_sdwa v71, v71, v74 dst_sel:DWORD dst_unused:UNUSED_PAD src0_sel:DWORD src1_sel:WORD_1
	v_pk_mul_f16 v93, 0xba62bb29, v81
	v_add_f16_e32 v92, v21, v92
	v_pk_add_f16 v89, v78, v89
	v_pack_b32_f16 v82, v22, v22
	v_add_f16_sdwa v71, v71, v75 dst_sel:DWORD dst_unused:UNUSED_PAD src0_sel:DWORD src1_sel:WORD_1
	v_pack_b32_f16 v84, v48, v48
	v_pk_mul_f16 v91, 0xb1e1ba62, v72
	v_pk_fma_f16 v95, 0x2de83722, v76, v90 neg_lo:[0,0,1] neg_hi:[0,0,1]
	v_pack_b32_f16 v83, v4, v4
	v_add_f16_sdwa v70, v70, v71 dst_sel:DWORD dst_unused:UNUSED_PAD src0_sel:WORD_1 src1_sel:DWORD
	v_pk_mul_f16 v71, 0xbbf7b964, v72
	v_pack_b32_f16 v74, v62, v62
	v_pk_mul_f16 v94, 0x3836bbb2, v84
	v_pk_add_f16 v95, v78, v95
	v_add_f16_sdwa v68, v68, v70 dst_sel:DWORD dst_unused:UNUSED_PAD src0_sel:WORD_1 src1_sel:DWORD
	v_fmamk_f16 v70, v79, 0x39e9, v71
	v_pk_fma_f16 v71, 0x2de839e9, v79, v71 neg_lo:[0,0,1] neg_hi:[0,0,1]
	v_pk_fma_f16 v97, 0xbbddb8d2, v79, v91 neg_lo:[0,0,1] neg_hi:[0,0,1]
	v_pack_b32_f16 v85, v3, v3
	v_add_f16_sdwa v68, v69, v68 dst_sel:DWORD dst_unused:UNUSED_PAD src0_sel:WORD_1 src1_sel:DWORD
	v_pk_mul_f16 v69, 0xb1e1bbf7, v73
	v_add_f16_e32 v70, v92, v70
	v_fmamk_f16 v92, v80, 0x3722, v93
	v_pk_add_f16 v71, v89, v71
	v_pk_fma_f16 v89, 0xb8d23722, v80, v93 neg_lo:[0,0,1] neg_hi:[0,0,1]
	v_pk_mul_f16 v93, 0x3bb231e1, v81
	v_pack_b32_f16 v87, v65, v65
	v_add_f16_e32 v70, v70, v92
	v_fmamk_f16 v92, v82, 0x2de8, v69
	v_pk_add_f16 v71, v71, v89
	v_pk_fma_f16 v69, 0xbbdd2de8, v82, v69 neg_lo:[0,0,1] neg_hi:[0,0,1]
	v_pk_mul_f16 v89, 0x3bb2ba62, v74
	v_pk_mul_f16 v99, 0xbb293964, v84
	v_add_f16_e32 v70, v70, v92
	v_fmamk_f16 v92, v83, 0xb461, v94
	v_pk_add_f16 v69, v71, v69
	v_pk_fma_f16 v71, 0xbacdb461, v83, v94 neg_lo:[0,0,1] neg_hi:[0,0,1]
	v_pk_add_f16 v94, v95, v97
	v_pk_fma_f16 v95, 0xb461bbdd, v80, v93 neg_lo:[0,0,1] neg_hi:[0,0,1]
	v_pk_mul_f16 v97, 0x35c83bb2, v73
	v_add_f16_e32 v70, v70, v92
	v_fmamk_f16 v92, v85, 0xb8d2, v89
	v_pack_b32_f16 v86, v64, v64
	v_pk_add_f16 v94, v94, v95
	v_pk_fma_f16 v95, 0x3b76b461, v82, v97 neg_lo:[0,0,1] neg_hi:[0,0,1]
	v_pack_b32_f16 v75, v67, v67
	v_pk_mul_f16 v96, 0x3b29b836, v87
	v_pk_add_f16 v69, v69, v71
	v_pk_fma_f16 v71, 0xb461b8d2, v85, v89 neg_lo:[0,0,1] neg_hi:[0,0,1]
	v_add_f16_e32 v70, v92, v70
	v_pk_add_f16 v89, v94, v95
	v_pk_fma_f16 v92, 0x372239e9, v83, v99 neg_lo:[0,0,1] neg_hi:[0,0,1]
	v_pk_mul_f16 v94, 0xb836b5c8, v74
	v_pack_b32_f16 v88, v66, v66
	v_pk_mul_f16 v98, 0x35c8b1e1, v75
	v_fmamk_f16 v95, v86, 0xbacd, v96
	v_pk_add_f16 v69, v71, v69
	v_pk_fma_f16 v71, 0x3722bacd, v86, v96 neg_lo:[0,0,1] neg_hi:[0,0,1]
	v_pk_add_f16 v89, v89, v92
	v_pk_fma_f16 v92, 0xbacd3b76, v85, v94 neg_lo:[0,0,1] neg_hi:[0,0,1]
	v_pk_mul_f16 v96, 0x3a62bbf7, v87
	v_add_f16_e32 v70, v95, v70
	v_pk_add_f16 v69, v71, v69
	v_pk_fma_f16 v71, 0x3b76bbdd, v88, v98 neg_lo:[0,0,1] neg_hi:[0,0,1]
	v_pk_add_f16 v89, v92, v89
	v_pk_fma_f16 v92, 0xb8d22de8, v86, v96 neg_lo:[0,0,1] neg_hi:[0,0,1]
	v_mul_f16_e32 v59, 0xb461, v59
	v_mul_f16_e32 v95, 0xba62, v60
	;; [unrolled: 1-line block ×3, first 2 shown]
	v_pk_add_f16 v69, v71, v69
	v_pk_add_f16 v71, v92, v89
	v_perm_b32 v61, v61, v59, 0x5040100
	v_mul_f16_e32 v56, 0xbacd, v56
	v_perm_b32 v92, v95, v60, 0x5040100
	v_mul_f16_e32 v95, 0x3bb2, v52
	v_mul_f16_e32 v52, 0x3836, v52
	;; [unrolled: 1-line block ×3, first 2 shown]
	v_perm_b32 v54, v54, v56, 0x5040100
	v_pk_add_f16 v61, v61, v92 neg_lo:[0,1] neg_hi:[0,1]
	v_mul_f16_e32 v22, 0x3722, v22
	v_perm_b32 v92, v95, v52, 0x5040100
	v_mul_f16_e32 v95, 0xb5c8, v50
	v_mul_f16_e32 v50, 0x3964, v50
	v_pk_add_f16 v61, v78, v61
	v_perm_b32 v53, v53, v51, 0x5040100
	v_pk_add_f16 v54, v54, v92 neg_lo:[0,1] neg_hi:[0,1]
	v_add_f16_e32 v21, v21, v45
	v_perm_b32 v92, v95, v50, 0x5040100
	v_mul_f16_e32 v95, 0xb836, v49
	v_mul_f16_e32 v49, 0xbb29, v49
	v_pk_add_f16 v54, v61, v54
	v_perm_b32 v55, v55, v22, 0x5040100
	v_pk_add_f16 v53, v53, v92 neg_lo:[0,1] neg_hi:[0,1]
	v_add_f16_e32 v21, v21, v43
	v_perm_b32 v61, v95, v49, 0x5040100
	v_mul_f16_e32 v92, 0x3bf7, v48
	v_mul_f16_e32 v4, 0xbbdd, v4
	;; [unrolled: 1-line block ×3, first 2 shown]
	v_pk_add_f16 v53, v54, v53
	v_pk_add_f16 v54, v55, v61 neg_lo:[0,1] neg_hi:[0,1]
	v_add_f16_e32 v21, v21, v41
	v_perm_b32 v55, v57, v4, 0x5040100
	v_perm_b32 v57, v92, v48, 0x5040100
	v_mul_f16_e32 v3, 0x2de8, v3
	v_pk_add_f16 v53, v53, v54
	v_mul_f16_e32 v54, 0xb964, v62
	v_mul_f16_e32 v62, 0x3bf7, v62
	v_add_f16_e32 v21, v21, v39
	v_pk_add_f16 v55, v55, v57 neg_lo:[0,1] neg_hi:[0,1]
	v_mul_f16_e32 v64, 0x3b76, v64
	v_perm_b32 v58, v58, v3, 0x5040100
	v_perm_b32 v54, v54, v62, 0x5040100
	v_add_f16_e32 v21, v21, v38
	v_mul_f16_e32 v57, 0xb1e1, v65
	v_pk_add_f16 v53, v53, v55
	v_mul_f16_e32 v65, 0xb5c8, v65
	v_pk_add_f16 v54, v58, v54 neg_lo:[0,1] neg_hi:[0,1]
	v_perm_b32 v58, v63, v64, 0x5040100
	v_pk_mul_f16 v63, 0x2de83722, v76
	v_add_f16_e32 v21, v21, v36
	v_pk_mul_f16 v89, 0x3964b836, v75
	v_perm_b32 v57, v57, v65, 0x5040100
	v_pk_add_f16 v53, v54, v53
	v_pk_mul_f16 v54, 0xbbddb8d2, v79
	v_bfi_b32 v60, 0xffff, v60, v90
	v_bfi_b32 v59, 0xffff, v59, v63
	v_add_f16_e32 v21, v21, v34
	v_pk_fma_f16 v100, 0x39e9bacd, v88, v89 neg_lo:[0,0,1] neg_hi:[0,0,1]
	v_mul_f16_e32 v55, 0x3b29, v67
	v_mul_f16_e32 v67, 0xba62, v67
	v_pk_add_f16 v57, v58, v57 neg_lo:[0,1] neg_hi:[0,1]
	v_pk_mul_f16 v58, 0xb461bbdd, v80
	v_pk_add_f16 v59, v60, v59
	v_bfi_b32 v52, 0xffff, v52, v91
	v_bfi_b32 v54, 0xffff, v56, v54
	v_add_f16_e32 v21, v21, v32
	v_pk_add_f16 v61, v100, v71
	v_pk_mul_f16 v71, 0x3b76b461, v82
	v_pk_add_f16 v59, v78, v59
	v_pk_add_f16 v52, v52, v54
	v_bfi_b32 v50, 0xffff, v50, v93
	v_bfi_b32 v51, 0xffff, v51, v58
	v_perm_b32 v54, v55, v67, 0x5040100
	v_pk_mul_f16 v55, 0x39e93722, v76
	v_add_f16_e32 v21, v21, v33
	v_pk_add_f16 v52, v59, v52
	v_pk_add_f16 v50, v50, v51
	v_bfi_b32 v49, 0xffff, v49, v97
	v_bfi_b32 v22, 0xffff, v22, v71
	v_pk_fma_f16 v51, 0xb964bb29, v77, v55
	v_pk_mul_f16 v55, 0x2de8b8d2, v79
	v_add_f16_e32 v21, v21, v35
	v_pk_mul_f16 v63, 0x372239e9, v83
	v_pk_add_f16 v50, v52, v50
	v_pk_add_f16 v22, v49, v22
	;; [unrolled: 1-line block ×3, first 2 shown]
	v_pk_fma_f16 v51, 0xbbf7ba62, v72, v55
	v_pk_mul_f16 v52, 0xb8d2bbdd, v80
	v_add_f16_e32 v21, v21, v37
	v_pk_add_f16 v53, v57, v53
	v_pk_mul_f16 v57, 0xbacd3b76, v85
	v_bfi_b32 v48, 0xffff, v48, v99
	v_bfi_b32 v4, 0xffff, v4, v63
	v_pk_add_f16 v22, v50, v22
	v_pk_add_f16 v49, v49, v51
	v_pk_fma_f16 v50, 0xba6231e1, v81, v52
	v_pk_mul_f16 v51, 0xbbddb461, v82
	v_add_f16_e32 v21, v21, v40
	v_pk_add_f16 v4, v48, v4
	v_bfi_b32 v48, 0xffff, v62, v94
	v_bfi_b32 v3, 0xffff, v3, v57
	v_pk_add_f16 v49, v49, v50
	v_pk_fma_f16 v50, 0xb1e13bb2, v73, v51
	v_pk_mul_f16 v51, 0xbacd39e9, v83
	v_mul_f16_e32 v66, 0xb8d2, v66
	v_add_f16_e32 v21, v42, v21
	v_pk_mul_f16 v60, 0xb8d22de8, v86
	v_pk_add_f16 v4, v22, v4
	v_pk_add_f16 v3, v48, v3
	v_pk_add_f16 v22, v49, v50
	v_pk_fma_f16 v48, 0x38363964, v84, v51
	v_pk_mul_f16 v49, 0xb4613b76, v85
	v_add_f16_e32 v21, v44, v21
	v_perm_b32 v1, v1, v66, 0x5040100
	v_pk_mul_f16 v56, 0x39e9bacd, v88
	v_bfi_b32 v50, 0xffff, v65, v96
	v_bfi_b32 v51, 0xffff, v64, v60
	v_pk_add_f16 v3, v3, v4
	v_pk_add_f16 v4, v22, v48
	v_pk_fma_f16 v22, 0x3bb2b5c8, v74, v49
	v_pk_mul_f16 v48, 0x37222de8, v86
	v_add_f16_e32 v21, v46, v21
	v_pk_add_f16 v1, v1, v54 neg_lo:[0,1] neg_hi:[0,1]
	v_pk_add_f16 v49, v50, v51
	v_bfi_b32 v50, 0xffff, v67, v89
	v_bfi_b32 v52, 0xffff, v66, v56
	v_pk_add_f16 v4, v22, v4
	v_pk_fma_f16 v22, 0x3b29bbf7, v87, v48
	v_pk_mul_f16 v48, 0x3b76bacd, v88
	v_mul_u32_u24_e32 v90, 34, v15
	v_add_f16_e32 v21, v47, v21
	v_pk_add_f16 v1, v1, v53
	v_pk_add_f16 v3, v49, v3
	;; [unrolled: 1-line block ×4, first 2 shown]
	v_pk_fma_f16 v22, 0x35c8b836, v75, v48
	v_fmamk_f16 v91, v88, 0xbbdd, v98
	v_add3_u32 v90, 0, v90, v17
	v_alignbit_b32 v51, v68, v1, 16
	v_alignbit_b32 v49, v61, v69, 16
	v_alignbit_b32 v50, v1, v61, 16
	v_pack_b32_f16 v48, v21, v69
	v_pk_add_f16 v54, v52, v3
	v_pk_add_f16 v55, v22, v4
	v_perm_b32 v52, v20, v18, 0x5040100
	v_alignbit_b32 v53, v19, v20, 16
	v_add_f16_e32 v1, v91, v70
	ds_write_b128 v90, v[48:51]
	ds_write_b128 v90, v[52:55] offset:16
	ds_write_b16 v90, v1 offset:32
.LBB0_14:
	s_or_b32 exec_lo, exec_lo, s0
	v_lshlrev_b32_e32 v1, 1, v15
	s_waitcnt lgkmcnt(0)
	s_barrier
	buffer_gl0_inv
	v_cmp_gt_u32_e64 s0, 34, v15
	v_add_nc_u32_e32 v4, 0, v1
	v_add3_u32 v21, 0, v17, v1
	v_add_nc_u32_e32 v22, v4, v17
	ds_read_u16 v50, v21
	ds_read_u16 v52, v22 offset:1156
	ds_read_u16 v54, v22 offset:1020
	;; [unrolled: 1-line block ×7, first 2 shown]
	s_and_saveexec_b32 s4, s0
	s_cbranch_execz .LBB0_16
; %bb.15:
	ds_read_u16 v20, v22 offset:612
	ds_read_u16 v18, v22 offset:272
	ds_read_u16 v19, v22 offset:1292
	s_waitcnt lgkmcnt(2)
	ds_read_u16_d16_hi v20, v22 offset:952
.LBB0_16:
	s_or_b32 exec_lo, exec_lo, s4
	v_sub_f16_e32 v45, v45, v47
	v_add_f16_e32 v47, v31, v0
	v_sub_f16_e32 v43, v43, v46
	v_add_f16_e32 v56, v30, v5
	v_sub_f16_e32 v57, v41, v44
	v_mul_f16_e32 v1, 0xb1e1, v45
	v_sub_f16_e32 v59, v39, v42
	v_mul_f16_e32 v3, 0x35c8, v43
	v_add_f16_e32 v46, v29, v6
	v_sub_f16_e32 v61, v38, v40
	v_fmamk_f16 v39, v47, 0xbbdd, v1
	v_fma_f16 v1, v47, 0xbbdd, -v1
	v_mul_f16_e32 v38, 0xb836, v57
	v_fmamk_f16 v40, v56, 0x3b76, v3
	v_add_f16_e32 v60, v28, v7
	v_add_f16_e32 v39, v2, v39
	v_fma_f16 v3, v56, 0x3b76, -v3
	v_add_f16_e32 v1, v2, v1
	v_mul_f16_e32 v41, 0x3964, v59
	v_fmamk_f16 v42, v46, 0xbacd, v38
	v_add_f16_e32 v39, v39, v40
	v_fma_f16 v38, v46, 0xbacd, -v38
	v_add_f16_e32 v1, v1, v3
	v_pk_mul_f16 v40, 0xba62b836, v45 op_sel_hi:[1,0]
	v_add_f16_e32 v63, v27, v8
	v_add_f16_e32 v39, v39, v42
	v_fmamk_f16 v42, v60, 0x39e9, v41
	v_add_f16_e32 v1, v1, v38
	v_fma_f16 v38, v60, 0x39e9, -v41
	v_pk_fma_f16 v44, 0xb8d2bacd, v47, v40 op_sel_hi:[1,0,1] neg_lo:[0,0,1] neg_hi:[0,0,1]
	v_mul_f16_e32 v3, 0xba62, v61
	v_add_f16_e32 v42, v39, v42
	v_pk_mul_f16 v39, 0x3bb23b29, v43 op_sel_hi:[1,0]
	v_add_f16_e32 v1, v1, v38
	v_sub_f16_e32 v58, v36, v37
	v_pk_add_f16 v36, v2, v44 op_sel_hi:[0,1]
	v_pk_mul_f16 v38, 0xb5c8bbf7, v57 op_sel_hi:[1,0]
	v_pk_fma_f16 v37, 0xb4613722, v56, v39 op_sel_hi:[1,0,1] neg_lo:[0,0,1] neg_hi:[0,0,1]
	v_fmamk_f16 v41, v63, 0xb8d2, v3
	v_fma_f16 v3, v63, 0xb8d2, -v3
	v_add_f16_e32 v64, v26, v9
	v_pk_fma_f16 v62, 0x3b762de8, v46, v38 op_sel_hi:[1,0,1] neg_lo:[0,0,1] neg_hi:[0,0,1]
	v_pk_add_f16 v36, v36, v37
	v_pk_mul_f16 v37, 0xb8363a62, v59 op_sel_hi:[1,0]
	v_add_f16_e32 v41, v42, v41
	v_mul_f16_e32 v42, 0x3b29, v58
	v_sub_f16_e32 v44, v34, v35
	v_pk_add_f16 v34, v36, v62
	v_pk_fma_f16 v35, 0xbacdb8d2, v60, v37 op_sel_hi:[1,0,1] neg_lo:[0,0,1] neg_hi:[0,0,1]
	v_pk_mul_f16 v36, 0x3bf7b5c8, v61 op_sel_hi:[1,0]
	v_add_f16_e32 v1, v1, v3
	v_fmamk_f16 v3, v64, 0x3722, v42
	v_fma_f16 v42, v64, 0x3722, -v42
	v_pk_add_f16 v34, v34, v35
	v_pk_fma_f16 v66, 0x2de83b76, v63, v36 op_sel_hi:[1,0,1] neg_lo:[0,0,1] neg_hi:[0,0,1]
	v_pk_mul_f16 v35, 0xb964b1e1, v58 op_sel_hi:[1,0]
	v_add_f16_e32 v62, v25, v10
	v_mul_f16_e32 v65, 0xbbb2, v44
	v_add_f16_e32 v67, v3, v41
	v_pk_add_f16 v34, v34, v66
	v_pk_fma_f16 v66, 0x39e9bbdd, v64, v35 op_sel_hi:[1,0,1] neg_lo:[0,0,1] neg_hi:[0,0,1]
	v_pk_mul_f16 v3, 0xb1e13964, v44 op_sel_hi:[1,0]
	v_sub_f16_e32 v41, v32, v33
	v_add_f16_e32 v1, v42, v1
	v_fmamk_f16 v68, v62, 0xb461, v65
	v_fma_f16 v32, v62, 0xb461, -v65
	v_add_f16_e32 v42, v24, v23
	v_pk_add_f16 v33, v66, v34
	v_pk_fma_f16 v65, 0xbbdd39e9, v62, v3 op_sel_hi:[1,0,1] neg_lo:[0,0,1] neg_hi:[0,0,1]
	v_pk_mul_f16 v34, 0x3b29bbb2, v41 op_sel_hi:[1,0]
	v_mul_f16_e32 v66, 0x3bf7, v41
	v_add_f16_e32 v67, v68, v67
	v_add_f16_e32 v68, v32, v1
	v_pk_add_f16 v1, v65, v33
	v_pk_fma_f16 v32, 0x3722b461, v42, v34 op_sel_hi:[1,0,1] neg_lo:[0,0,1] neg_hi:[0,0,1]
	v_fmamk_f16 v33, v42, 0x2de8, v66
	v_fma_f16 v65, v42, 0x2de8, -v66
	s_waitcnt lgkmcnt(0)
	s_barrier
	v_pk_add_f16 v1, v32, v1
	v_add_f16_e32 v32, v33, v67
	v_add_f16_e32 v33, v65, v68
	buffer_gl0_inv
	s_and_saveexec_b32 s4, s1
	s_cbranch_execz .LBB0_18
; %bb.17:
	v_add_f16_e32 v31, v2, v31
	v_pack_b32_f16 v66, v45, v45
	v_pack_b32_f16 v65, v47, v47
	v_perm_b32 v67, v2, v2, 0x5040100
	v_pack_b32_f16 v68, v56, v56
	v_add_f16_e32 v30, v31, v30
	v_pack_b32_f16 v31, v43, v43
	v_pack_b32_f16 v70, v57, v57
	v_pack_b32_f16 v72, v63, v63
	v_pk_mul_f16 v81, 0x2de83b76, v63 op_sel_hi:[1,0]
	v_add_f16_e32 v29, v30, v29
	v_pack_b32_f16 v30, v59, v59
	v_pack_b32_f16 v69, v46, v46
	;; [unrolled: 1-line block ×4, first 2 shown]
	v_add_f16_e32 v28, v29, v28
	v_pack_b32_f16 v74, v64, v64
	v_pk_mul_f16 v80, 0x3b762de8, v46 op_sel_hi:[1,0]
	v_pk_mul_f16 v82, 0x39e9bbdd, v64 op_sel_hi:[1,0]
	v_pk_mul_f16 v84, 0xb1e1bbf7, v30
	v_add_f16_e32 v27, v28, v27
	v_pack_b32_f16 v29, v58, v58
	v_pack_b32_f16 v76, v44, v44
	;; [unrolled: 1-line block ×4, first 2 shown]
	v_add_f16_e32 v26, v27, v26
	v_pk_mul_f16 v27, 0xbacdb8d2, v60 op_sel_hi:[1,0]
	v_pk_mul_f16 v85, 0x3bb2ba62, v29
	v_pack_b32_f16 v77, v42, v42
	v_pk_mul_f16 v83, 0xbbdd39e9, v62 op_sel_hi:[1,0]
	v_add_f16_e32 v25, v26, v25
	v_pk_mul_f16 v78, 0xb8d2bacd, v47 op_sel_hi:[1,0]
	v_mul_f16_e32 v47, 0xb461, v47
	v_mul_f16_e32 v45, 0xbbb2, v45
	v_pk_mul_f16 v79, 0xb4613722, v56 op_sel_hi:[1,0]
	v_add_f16_e32 v24, v25, v24
	v_mul_f16_e32 v25, 0x3836, v43
	v_mul_f16_e32 v43, 0x39e9, v46
	v_mul_f16_e32 v46, 0x3964, v57
	v_mul_f16_e32 v57, 0x3722, v60
	v_add_f16_e32 v23, v24, v23
	v_mul_f16_e32 v24, 0xbb29, v59
	v_mul_f16_e32 v59, 0xbbdd, v63
	v_pk_mul_f16 v63, 0xbbf7b964, v31
	v_mul_f16_e32 v60, 0xb1e1, v61
	v_add_f16_e32 v10, v23, v10
	v_pk_mul_f16 v23, 0xb964b5c8, v66
	v_mul_f16_e32 v61, 0x2de8, v64
	v_pk_mul_f16 v64, 0xba62bb29, v70
	v_mul_f16_e32 v56, 0xbacd, v56
	v_add_f16_e32 v9, v10, v9
	v_fma_f16 v86, v65, 0x3b76, -v23
	v_pk_fma_f16 v23, 0x39e93b76, v65, v23
	v_pk_mul_f16 v10, 0x3836bbb2, v73
	v_pk_mul_f16 v87, 0xb461bbdd, v69
	v_add_f16_e32 v8, v9, v8
	v_fma_f16 v9, v68, 0x39e9, -v63
	v_pk_fma_f16 v63, 0x2de839e9, v68, v63
	v_add_f16_e32 v86, v2, v86
	v_pk_add_f16 v23, v67, v23
	v_add_f16_e32 v7, v7, v8
	v_fma_f16 v8, v69, 0x3722, -v64
	v_pk_fma_f16 v64, 0xb8d23722, v69, v64
	v_add_f16_e32 v9, v86, v9
	v_pk_add_f16 v23, v23, v63
	;; [unrolled: 5-line block ×4, first 2 shown]
	v_pk_mul_f16 v23, 0xbbf7bb29, v66
	v_add_f16_e32 v0, v0, v5
	v_mul_f16_e32 v5, 0x3bf7, v58
	v_add_f16_e32 v6, v7, v6
	v_pk_add_f16 v7, v8, v10
	v_fma_f16 v8, v74, 0xb8d2, -v85
	v_pk_fma_f16 v10, 0xb461b8d2, v74, v85
	v_pk_mul_f16 v58, 0x3b29b836, v76
	v_pk_mul_f16 v84, 0x3bb231e1, v70
	v_mul_f16_e32 v9, 0x3b76, v62
	v_add_f16_e32 v6, v8, v6
	v_pk_add_f16 v7, v10, v7
	v_pk_fma_f16 v8, 0x2de83722, v65, v23
	v_pk_mul_f16 v10, 0xb1e1ba62, v31
	v_fma_f16 v62, v75, 0xbacd, -v58
	v_pk_fma_f16 v58, 0x3722bacd, v75, v58
	v_pk_mul_f16 v63, 0x35c8b1e1, v28
	v_pk_add_f16 v8, v67, v8
	v_pk_fma_f16 v64, 0xbbddb8d2, v68, v10
	v_pk_mul_f16 v66, 0x39643b29, v66
	v_pk_add_f16 v7, v58, v7
	v_pk_mul_f16 v58, 0x3b76bbdd, v77
	v_pk_fma_f16 v85, 0x3b76bbdd, v77, v63
	v_pk_add_f16 v8, v8, v64
	v_pk_fma_f16 v64, 0xb461bbdd, v69, v84
	v_add_f16_e32 v62, v62, v6
	v_pk_mul_f16 v31, 0x3bf73a62, v31
	v_sub_f16_e32 v58, v58, v63
	v_pk_add_f16 v63, v85, v7
	v_pk_add_f16 v6, v8, v64
	v_pk_mul_f16 v64, 0x2de83722, v65
	v_pk_fma_f16 v65, 0x39e93722, v65, v66
	v_pk_mul_f16 v85, 0xbbddb8d2, v68
	v_pk_fma_f16 v31, 0x2de8b8d2, v68, v31
	v_pk_mul_f16 v68, 0x3a62b1e1, v70
	v_pk_mul_f16 v86, 0x35c83bb2, v30
	v_pk_add_f16 v65, v67, v65
	v_pk_mul_f16 v30, 0x31e1bbb2, v30
	v_bfi_b32 v64, 0xffff, v47, v64
	v_bfi_b32 v23, 0xffff, v45, v23
	;; [unrolled: 1-line block ×3, first 2 shown]
	v_pk_add_f16 v31, v65, v31
	v_pk_fma_f16 v65, 0xb8d2bbdd, v69, v68
	v_pk_fma_f16 v30, 0xbbddb461, v71, v30
	v_pk_add_f16 v23, v64, v23 neg_lo:[0,1] neg_hi:[0,1]
	v_bfi_b32 v64, 0xffff, v56, v85
	v_pk_mul_f16 v88, 0xb836b5c8, v29
	v_pk_add_f16 v31, v31, v65
	v_pk_mul_f16 v65, 0xb836b964, v73
	v_pk_mul_f16 v89, 0x3b76b461, v71
	;; [unrolled: 1-line block ×3, first 2 shown]
	v_pk_add_f16 v23, v67, v23
	v_pk_add_f16 v30, v31, v30
	v_pk_fma_f16 v31, 0xbacd39e9, v72, v65
	v_pk_add_f16 v10, v64, v10 neg_lo:[0,1] neg_hi:[0,1]
	v_bfi_b32 v64, 0xffff, v43, v87
	v_bfi_b32 v65, 0xffff, v46, v84
	v_pk_fma_f16 v7, 0x3b76b461, v71, v86
	v_pk_mul_f16 v8, 0xbb293964, v73
	v_pk_mul_f16 v90, 0x372239e9, v72
	v_pk_add_f16 v30, v30, v31
	v_pk_fma_f16 v29, 0xb4613b76, v74, v29
	v_pk_mul_f16 v31, 0xbb293bf7, v76
	v_pk_add_f16 v10, v23, v10
	v_pk_add_f16 v23, v64, v65 neg_lo:[0,1] neg_hi:[0,1]
	v_bfi_b32 v64, 0xffff, v57, v89
	v_bfi_b32 v65, 0xffff, v24, v86
	v_pk_add_f16 v6, v6, v7
	v_pk_fma_f16 v7, 0x372239e9, v72, v8
	v_pk_add_f16 v29, v29, v30
	v_pk_fma_f16 v30, 0x37222de8, v75, v31
	v_pk_add_f16 v10, v10, v23
	v_pk_add_f16 v23, v64, v65 neg_lo:[0,1] neg_hi:[0,1]
	v_bfi_b32 v31, 0xffff, v59, v90
	v_bfi_b32 v8, 0xffff, v60, v8
	v_pk_add_f16 v29, v30, v29
	v_bfi_b32 v30, 0xffff, v45, v40
	v_pk_add_f16 v10, v10, v23
	v_bfi_b32 v23, 0xffff, v47, v78
	v_pk_add_f16 v8, v31, v8 neg_lo:[0,1] neg_hi:[0,1]
	v_bfi_b32 v25, 0xffff, v25, v39
	v_bfi_b32 v24, 0xffff, v24, v37
	v_pk_mul_f16 v26, 0x3722b461, v42 op_sel_hi:[1,0]
	v_pk_add_f16 v23, v23, v30
	v_pk_add_f16 v8, v10, v8
	v_add_f16_e32 v10, v78, v40
	v_bfi_b32 v30, 0xffff, v56, v79
	v_mul_f16_e32 v44, 0xb5c8, v44
	v_pk_add_f16 v23, v67, v23
	v_pk_add_f16 v6, v6, v7
	v_add_f16_e32 v2, v2, v10
	v_add_f16_e32 v10, v79, v39
	v_pk_add_f16 v25, v30, v25
	v_bfi_b32 v30, 0xffff, v43, v80
	v_bfi_b32 v39, 0xffff, v46, v38
	v_pk_fma_f16 v7, 0xbacd3b76, v74, v88
	v_add_f16_e32 v2, v2, v10
	v_add_f16_e32 v10, v80, v38
	v_pk_add_f16 v23, v23, v25
	v_pk_add_f16 v25, v30, v39
	v_bfi_b32 v30, 0xffff, v57, v27
	v_pk_mul_f16 v91, 0x3a62bbf7, v76
	v_add_f16_e32 v2, v2, v10
	v_add_f16_e32 v10, v27, v37
	v_pk_add_f16 v23, v23, v25
	v_pk_add_f16 v24, v30, v24
	v_bfi_b32 v25, 0xffff, v59, v81
	v_bfi_b32 v27, 0xffff, v60, v36
	v_pk_mul_f16 v66, 0xbacd3b76, v74
	v_pk_mul_f16 v70, 0xb8d22de8, v75
	v_mul_f16_e32 v31, 0xb8d2, v42
	v_bfi_b32 v42, 0xffff, v5, v88
	v_add_f16_e32 v2, v2, v10
	v_add_f16_e32 v10, v81, v36
	v_pk_add_f16 v23, v23, v24
	v_pk_add_f16 v24, v25, v27
	v_bfi_b32 v25, 0xffff, v61, v82
	v_bfi_b32 v5, 0xffff, v5, v35
	v_pk_add_f16 v6, v7, v6
	v_pk_fma_f16 v7, 0xb8d22de8, v75, v91
	v_mul_f16_e32 v41, 0xba62, v41
	v_bfi_b32 v40, 0xffff, v61, v66
	v_bfi_b32 v30, 0xffff, v9, v70
	v_add_f16_e32 v2, v2, v10
	v_add_f16_e32 v10, v82, v35
	v_pk_add_f16 v23, v23, v24
	v_pk_add_f16 v5, v25, v5
	v_bfi_b32 v9, 0xffff, v9, v83
	v_bfi_b32 v24, 0xffff, v44, v3
	v_pk_add_f16 v6, v7, v6
	v_pk_mul_f16 v7, 0x39e9bacd, v77
	v_pk_mul_f16 v68, 0x3964b836, v28
	v_pk_add_f16 v38, v40, v42 neg_lo:[0,1] neg_hi:[0,1]
	v_bfi_b32 v27, 0xffff, v44, v91
	v_add_f16_e32 v2, v10, v2
	v_pk_add_f16 v5, v5, v23
	v_pk_add_f16 v9, v9, v24
	v_bfi_b32 v10, 0xffff, v31, v26
	v_bfi_b32 v23, 0xffff, v41, v34
	v_add_f16_e32 v3, v83, v3
	v_pk_fma_f16 v64, 0x39e9bacd, v77, v68
	v_pk_add_f16 v8, v38, v8
	v_pk_add_f16 v25, v30, v27 neg_lo:[0,1] neg_hi:[0,1]
	v_bfi_b32 v7, 0xffff, v31, v7
	v_bfi_b32 v24, 0xffff, v41, v68
	v_pk_add_f16 v5, v9, v5
	v_pk_add_f16 v9, v10, v23
	v_add_f16_e32 v2, v3, v2
	v_add_f16_e32 v3, v26, v34
	v_pk_mul_f16 v28, 0xb5c83836, v28
	v_pk_add_f16 v8, v25, v8
	v_pk_add_f16 v7, v7, v24 neg_lo:[0,1] neg_hi:[0,1]
	v_pk_add_f16 v9, v9, v5
	v_lshlrev_b32_e32 v5, 5, v15
	v_add_f16_e32 v10, v3, v2
	v_pk_add_f16 v6, v64, v6
	v_pk_fma_f16 v28, 0x3b76bacd, v77, v28
	v_pk_add_f16 v2, v7, v8
	v_add3_u32 v8, v4, v5, v17
	v_alignbit_b32 v7, v10, v9, 16
	v_alignbit_b32 v5, v6, v63, 16
	;; [unrolled: 1-line block ×3, first 2 shown]
	v_pack_b32_f16 v4, v0, v63
	v_pk_add_f16 v3, v28, v29
	v_perm_b32 v0, v33, v32, 0x5040100
	v_add_f16_e32 v9, v58, v62
	ds_write_b128 v8, v[4:7]
	ds_write_b128 v8, v[0:3] offset:16
	ds_write_b16 v8, v9 offset:32
.LBB0_18:
	s_or_b32 exec_lo, exec_lo, s4
	s_waitcnt lgkmcnt(0)
	s_barrier
	buffer_gl0_inv
	ds_read_u16 v0, v21
	ds_read_u16 v27, v22 offset:1156
	ds_read_u16 v29, v22 offset:1020
	;; [unrolled: 1-line block ×7, first 2 shown]
	s_and_saveexec_b32 s1, s0
	s_cbranch_execz .LBB0_20
; %bb.19:
	ds_read_u16 v1, v22 offset:952
	ds_read_u16 v32, v22 offset:272
	;; [unrolled: 1-line block ×3, first 2 shown]
	s_waitcnt lgkmcnt(2)
	ds_read_u16_d16_hi v1, v22 offset:1292
.LBB0_20:
	s_or_b32 exec_lo, exec_lo, s1
	v_and_b32_e32 v2, 0xff, v15
	v_add_nc_u16 v3, v15, 0x44
	v_add_nc_u16 v4, v15, 0x88
	v_mov_b32_e32 v8, 3
	v_mov_b32_e32 v37, 1
	v_mul_lo_u16 v2, 0xf1, v2
	v_and_b32_e32 v5, 0xff, v3
	s_waitcnt lgkmcnt(0)
	v_lshrrev_b32_e32 v41, 16, v1
	v_lshrrev_b16 v30, 12, v2
	v_and_b32_e32 v2, 0xff, v4
	v_mul_lo_u16 v5, 0xf1, v5
	v_mul_lo_u16 v6, v30, 17
	;; [unrolled: 1-line block ×3, first 2 shown]
	v_lshrrev_b16 v34, 12, v5
	v_and_b32_e32 v30, 0xffff, v30
	v_sub_nc_u16 v35, v15, v6
	v_lshrrev_b16 v36, 12, v2
	v_mul_lo_u16 v2, v34, 17
	v_and_b32_e32 v34, 0xffff, v34
	v_mad_u32_u24 v39, 0x88, v30, 0
	v_mul_u32_u24_sdwa v5, v35, v8 dst_sel:DWORD dst_unused:UNUSED_PAD src0_sel:BYTE_0 src1_sel:DWORD
	v_mul_lo_u16 v6, v36, 17
	v_sub_nc_u16 v38, v3, v2
	v_lshlrev_b32_sdwa v35, v37, v35 dst_sel:DWORD dst_unused:UNUSED_PAD src0_sel:DWORD src1_sel:BYTE_0
	v_mad_u32_u24 v40, 0x88, v34, 0
	v_lshlrev_b32_e32 v2, 2, v5
	v_sub_nc_u16 v26, v4, v6
	v_mul_u32_u24_sdwa v3, v38, v8 dst_sel:DWORD dst_unused:UNUSED_PAD src0_sel:BYTE_0 src1_sel:DWORD
	v_lshlrev_b32_sdwa v38, v37, v38 dst_sel:DWORD dst_unused:UNUSED_PAD src0_sel:DWORD src1_sel:BYTE_0
	v_and_b32_e32 v30, 0xffff, v36
	global_load_dwordx3 v[5:7], v2, s[12:13]
	v_mul_u32_u24_sdwa v2, v26, v8 dst_sel:DWORD dst_unused:UNUSED_PAD src0_sel:BYTE_0 src1_sel:DWORD
	v_lshlrev_b32_e32 v3, 2, v3
	v_add3_u32 v36, v39, v35, v17
	v_add3_u32 v35, v40, v38, v17
	v_lshrrev_b32_e32 v34, 16, v20
	v_lshlrev_b32_e32 v2, 2, v2
	s_clause 0x1
	global_load_dwordx3 v[8:10], v3, s[12:13]
	global_load_dwordx3 v[2:4], v2, s[12:13]
	s_waitcnt vmcnt(0)
	s_barrier
	buffer_gl0_inv
	v_mul_f16_sdwa v39, v31, v5 dst_sel:DWORD dst_unused:UNUSED_PAD src0_sel:DWORD src1_sel:WORD_1
	v_mul_f16_sdwa v38, v55, v5 dst_sel:DWORD dst_unused:UNUSED_PAD src0_sel:DWORD src1_sel:WORD_1
	;; [unrolled: 1-line block ×5, first 2 shown]
	v_fma_f16 v39, v55, v5, -v39
	v_fmac_f16_e32 v38, v31, v5
	v_fma_f16 v31, v49, v6, -v40
	v_fma_f16 v40, v54, v7, -v42
	v_fmac_f16_e32 v43, v29, v7
	v_mul_f16_sdwa v7, v28, v8 dst_sel:DWORD dst_unused:UNUSED_PAD src0_sel:DWORD src1_sel:WORD_1
	v_mul_f16_sdwa v5, v53, v8 dst_sel:DWORD dst_unused:UNUSED_PAD src0_sel:DWORD src1_sel:WORD_1
	;; [unrolled: 1-line block ×7, first 2 shown]
	v_fma_f16 v53, v53, v8, -v7
	v_fmac_f16_e32 v5, v28, v8
	v_fma_f16 v8, v48, v9, -v42
	v_fma_f16 v28, v52, v10, -v44
	v_mul_f16_sdwa v29, v20, v2 dst_sel:DWORD dst_unused:UNUSED_PAD src0_sel:DWORD src1_sel:WORD_1
	v_fmac_f16_e32 v45, v27, v10
	v_sub_f16_e32 v10, v50, v31
	v_sub_f16_e32 v27, v39, v40
	v_mul_f16_sdwa v46, v33, v2 dst_sel:DWORD dst_unused:UNUSED_PAD src0_sel:DWORD src1_sel:WORD_1
	v_fma_f16 v19, v19, v4, -v47
	v_fmac_f16_e32 v54, v41, v4
	v_sub_f16_e32 v4, v38, v43
	v_sub_f16_e32 v8, v51, v8
	;; [unrolled: 1-line block ×3, first 2 shown]
	v_fmac_f16_e32 v29, v33, v2
	v_fma_f16 v31, v50, 2.0, -v10
	v_fma_f16 v33, v39, 2.0, -v27
	v_fma_f16 v7, v20, v2, -v46
	v_sub_f16_e32 v2, v5, v45
	v_sub_f16_e32 v39, v10, v4
	v_fma_f16 v40, v51, 2.0, -v8
	v_fma_f16 v41, v53, 2.0, -v28
	v_sub_f16_e32 v33, v31, v33
	v_sub_f16_e32 v42, v8, v2
	v_fma_f16 v10, v10, 2.0, -v39
	v_sub_f16_e32 v19, v7, v19
	v_sub_f16_e32 v41, v40, v41
	;; [unrolled: 1-line block ×3, first 2 shown]
	v_fma_f16 v31, v31, 2.0, -v33
	v_fma_f16 v8, v8, 2.0, -v42
	ds_write_b16 v36, v10 offset:34
	v_fma_f16 v10, v40, 2.0, -v41
	ds_write_b16 v36, v39 offset:102
	ds_write_b16 v36, v33 offset:68
	ds_write_b16 v36, v31
	ds_write_b16 v35, v8 offset:34
	ds_write_b16 v35, v41 offset:68
	ds_write_b16 v35, v10
	ds_write_b16 v35, v42 offset:102
	s_and_saveexec_b32 s1, s0
	s_cbranch_execz .LBB0_22
; %bb.21:
	v_mul_f16_sdwa v8, v1, v3 dst_sel:DWORD dst_unused:UNUSED_PAD src0_sel:DWORD src1_sel:WORD_1
	v_fma_f16 v7, v7, 2.0, -v19
	v_lshlrev_b32_sdwa v31, v37, v26 dst_sel:DWORD dst_unused:UNUSED_PAD src0_sel:DWORD src1_sel:BYTE_0
	v_fma_f16 v8, v34, v3, -v8
	v_sub_f16_e32 v8, v18, v8
	v_fma_f16 v10, v18, 2.0, -v8
	v_mad_u32_u24 v18, 0x88, v30, 0
	v_sub_f16_e32 v33, v8, v20
	v_sub_f16_e32 v7, v10, v7
	v_add3_u32 v18, v18, v31, v17
	v_fma_f16 v8, v8, 2.0, -v33
	v_fma_f16 v10, v10, 2.0, -v7
	ds_write_b16 v18, v8 offset:34
	ds_write_b16 v18, v7 offset:68
	ds_write_b16 v18, v10
	ds_write_b16 v18, v33 offset:102
.LBB0_22:
	s_or_b32 exec_lo, exec_lo, s1
	v_mul_f16_sdwa v7, v49, v6 dst_sel:DWORD dst_unused:UNUSED_PAD src0_sel:DWORD src1_sel:WORD_1
	v_mul_f16_sdwa v8, v48, v9 dst_sel:DWORD dst_unused:UNUSED_PAD src0_sel:DWORD src1_sel:WORD_1
	v_fma_f16 v4, v38, 2.0, -v4
	s_waitcnt lgkmcnt(0)
	s_barrier
	v_fmac_f16_e32 v7, v25, v6
	v_fmac_f16_e32 v8, v24, v9
	v_fma_f16 v25, v5, 2.0, -v2
	buffer_gl0_inv
	v_sub_f16_e32 v24, v0, v7
	v_sub_f16_e32 v31, v23, v8
	v_fma_f16 v33, v0, 2.0, -v24
	v_fma_f16 v23, v23, 2.0, -v31
	v_add_f16_e32 v27, v24, v27
	v_add_f16_e32 v28, v31, v28
	v_sub_f16_e32 v37, v33, v4
	ds_read_u16 v0, v21
	ds_read_u16 v2, v22 offset:136
	ds_read_u16 v5, v22 offset:272
	;; [unrolled: 1-line block ×9, first 2 shown]
	v_sub_f16_e32 v25, v23, v25
	v_fma_f16 v24, v24, 2.0, -v27
	v_fma_f16 v31, v31, 2.0, -v28
	v_fma_f16 v33, v33, 2.0, -v37
	s_waitcnt lgkmcnt(0)
	v_fma_f16 v23, v23, 2.0, -v25
	s_barrier
	buffer_gl0_inv
	ds_write_b16 v36, v33
	ds_write_b16 v36, v24 offset:34
	ds_write_b16 v36, v37 offset:68
	;; [unrolled: 1-line block ×3, first 2 shown]
	ds_write_b16 v35, v23
	ds_write_b16 v35, v31 offset:34
	ds_write_b16 v35, v25 offset:68
	;; [unrolled: 1-line block ×3, first 2 shown]
	s_and_saveexec_b32 s1, s0
	s_cbranch_execz .LBB0_24
; %bb.23:
	v_mul_f16_sdwa v23, v34, v3 dst_sel:DWORD dst_unused:UNUSED_PAD src0_sel:DWORD src1_sel:WORD_1
	v_fma_f16 v20, v29, 2.0, -v20
	v_mad_u32_u24 v24, 0x88, v30, 0
	v_fmac_f16_e32 v23, v1, v3
	v_mov_b32_e32 v3, 1
	v_sub_f16_e32 v1, v32, v23
	v_lshlrev_b32_sdwa v3, v3, v26 dst_sel:DWORD dst_unused:UNUSED_PAD src0_sel:DWORD src1_sel:BYTE_0
	v_fma_f16 v23, v32, 2.0, -v1
	v_add_f16_e32 v19, v1, v19
	v_add3_u32 v3, v24, v3, v17
	v_sub_f16_e32 v20, v23, v20
	v_fma_f16 v1, v1, 2.0, -v19
	v_fma_f16 v17, v23, 2.0, -v20
	ds_write_b16 v3, v1 offset:34
	ds_write_b16 v3, v20 offset:68
	ds_write_b16 v3, v17
	ds_write_b16 v3, v19 offset:102
.LBB0_24:
	s_or_b32 exec_lo, exec_lo, s1
	s_waitcnt lgkmcnt(0)
	s_barrier
	buffer_gl0_inv
	s_and_saveexec_b32 s0, vcc_lo
	s_cbranch_execz .LBB0_26
; %bb.25:
	v_mul_u32_u24_e32 v1, 9, v15
	v_mul_lo_u32 v3, s3, v13
	v_mul_lo_u32 v15, s2, v14
	v_mad_u64_u32 v[13:14], null, s2, v13, 0
	v_lshlrev_b32_e32 v1, 2, v1
	v_mov_b32_e32 v17, 0
	v_lshlrev_b64 v[11:12], 2, v[11:12]
	s_clause 0x2
	global_load_dwordx4 v[23:26], v1, s[12:13] offset:204
	global_load_dwordx4 v[27:30], v1, s[12:13] offset:220
	global_load_dword v1, v1, s[12:13] offset:236
	v_add3_u32 v14, v14, v15, v3
	ds_read_u16 v19, v22 offset:272
	ds_read_u16 v20, v22 offset:952
	;; [unrolled: 1-line block ×8, first 2 shown]
	v_lshlrev_b64 v[13:14], 2, v[13:14]
	v_add_co_u32 v35, vcc_lo, s10, v13
	v_add_co_ci_u32_e32 v36, vcc_lo, s11, v14, vcc_lo
	v_lshlrev_b64 v[13:14], 2, v[16:17]
	ds_read_u16 v16, v22 offset:136
	ds_read_u16 v17, v21
	v_add_co_u32 v11, vcc_lo, v35, v11
	v_add_co_ci_u32_e32 v12, vcc_lo, v36, v12, vcc_lo
	v_add_co_u32 v11, vcc_lo, v11, v13
	v_add_co_ci_u32_e32 v12, vcc_lo, v12, v14, vcc_lo
	;; [unrolled: 2-line block ×3, first 2 shown]
	s_waitcnt vmcnt(2)
	v_mul_f16_sdwa v21, v5, v24 dst_sel:DWORD dst_unused:UNUSED_PAD src0_sel:DWORD src1_sel:WORD_1
	v_mul_f16_sdwa v22, v9, v26 dst_sel:DWORD dst_unused:UNUSED_PAD src0_sel:DWORD src1_sel:WORD_1
	s_waitcnt vmcnt(1)
	v_mul_f16_sdwa v35, v18, v30 dst_sel:DWORD dst_unused:UNUSED_PAD src0_sel:DWORD src1_sel:WORD_1
	v_mul_f16_sdwa v36, v10, v28 dst_sel:DWORD dst_unused:UNUSED_PAD src0_sel:DWORD src1_sel:WORD_1
	s_waitcnt lgkmcnt(4)
	v_mul_f16_sdwa v41, v32, v25 dst_sel:DWORD dst_unused:UNUSED_PAD src0_sel:DWORD src1_sel:WORD_1
	v_mul_f16_sdwa v42, v15, v27 dst_sel:DWORD dst_unused:UNUSED_PAD src0_sel:DWORD src1_sel:WORD_1
	s_waitcnt vmcnt(0) lgkmcnt(2)
	v_mul_f16_sdwa v43, v34, v1 dst_sel:DWORD dst_unused:UNUSED_PAD src0_sel:DWORD src1_sel:WORD_1
	v_mul_f16_sdwa v44, v20, v29 dst_sel:DWORD dst_unused:UNUSED_PAD src0_sel:DWORD src1_sel:WORD_1
	;; [unrolled: 1-line block ×10, first 2 shown]
	s_waitcnt lgkmcnt(1)
	v_mul_f16_sdwa v45, v16, v23 dst_sel:DWORD dst_unused:UNUSED_PAD src0_sel:DWORD src1_sel:WORD_1
	v_mul_f16_sdwa v50, v2, v23 dst_sel:DWORD dst_unused:UNUSED_PAD src0_sel:DWORD src1_sel:WORD_1
	v_fmac_f16_e32 v21, v19, v24
	v_fmac_f16_e32 v22, v31, v26
	;; [unrolled: 1-line block ×4, first 2 shown]
	v_fma_f16 v4, v4, v25, -v41
	v_fma_f16 v6, v6, v27, -v42
	;; [unrolled: 1-line block ×4, first 2 shown]
	v_fmac_f16_e32 v46, v25, v32
	v_fmac_f16_e32 v47, v1, v34
	;; [unrolled: 1-line block ×4, first 2 shown]
	v_fma_f16 v3, v9, v26, -v37
	v_fma_f16 v9, v10, v28, -v38
	;; [unrolled: 1-line block ×5, first 2 shown]
	v_fmac_f16_e32 v50, v23, v16
	v_sub_f16_e32 v1, v21, v22
	v_sub_f16_e32 v15, v35, v36
	v_add_f16_e32 v19, v22, v36
	v_sub_f16_e32 v20, v4, v6
	v_sub_f16_e32 v23, v8, v7
	v_add_f16_e32 v24, v6, v7
	;; [unrolled: 3-line block ×4, first 2 shown]
	v_add_f16_e32 v42, v46, v47
	v_sub_f16_e32 v18, v5, v10
	v_sub_f16_e32 v25, v46, v47
	v_sub_f16_e32 v26, v48, v49
	v_sub_f16_e32 v29, v6, v7
	v_sub_f16_e32 v30, v4, v8
	v_sub_f16_e32 v37, v6, v4
	v_sub_f16_e32 v40, v48, v46
	v_sub_f16_e32 v41, v49, v47
	s_waitcnt lgkmcnt(0)
	v_add_f16_e32 v43, v21, v17
	v_add_f16_e32 v44, v46, v50
	v_sub_f16_e32 v45, v5, v3
	v_sub_f16_e32 v53, v3, v5
	v_add_f16_e32 v55, v5, v10
	v_add_f16_e32 v5, v0, v5
	;; [unrolled: 1-line block ×4, first 2 shown]
	v_fma_f16 v15, -0.5, v19, v17
	v_add_f16_e32 v19, v20, v23
	v_fma_f16 v20, -0.5, v24, v2
	v_add_f16_e32 v23, v27, v28
	;; [unrolled: 2-line block ×3, first 2 shown]
	v_fma_f16 v2, -0.5, v39, v2
	v_fma_f16 v32, -0.5, v42, v50
	v_sub_f16_e32 v16, v3, v9
	v_add_f16_e32 v34, v21, v35
	v_sub_f16_e32 v38, v7, v8
	v_add_f16_e32 v51, v3, v9
	;; [unrolled: 2-line block ×3, first 2 shown]
	v_add_f16_e32 v22, v22, v43
	v_add_f16_e32 v33, v48, v44
	;; [unrolled: 1-line block ×4, first 2 shown]
	v_fmamk_f16 v6, v25, 0xbb9c, v20
	v_fmamk_f16 v39, v30, 0x3b9c, v24
	v_fmamk_f16 v41, v26, 0x3b9c, v2
	v_fmamk_f16 v42, v29, 0xbb9c, v32
	v_fmac_f16_e32 v2, 0xbb9c, v26
	v_fmac_f16_e32 v24, 0xbb9c, v30
	v_fmac_f16_e32 v20, 0x3b9c, v25
	v_fmac_f16_e32 v32, 0x3b9c, v29
	v_sub_f16_e32 v21, v21, v35
	v_fma_f16 v17, -0.5, v34, v17
	v_add_f16_e32 v28, v37, v38
	v_fma_f16 v37, -0.5, v51, v0
	v_fmamk_f16 v5, v18, 0x3b9c, v15
	v_fmac_f16_e32 v15, 0xbb9c, v18
	v_add_f16_e32 v22, v36, v22
	v_add_f16_e32 v33, v49, v33
	;; [unrolled: 1-line block ×4, first 2 shown]
	v_fmac_f16_e32 v39, 0x38b4, v29
	v_fmac_f16_e32 v42, 0x38b4, v30
	;; [unrolled: 1-line block ×5, first 2 shown]
	v_fma_f16 v0, -0.5, v55, v0
	v_fmac_f16_e32 v32, 0xb8b4, v30
	v_fmac_f16_e32 v41, 0xb8b4, v25
	;; [unrolled: 1-line block ×3, first 2 shown]
	v_sub_f16_e32 v46, v10, v9
	v_sub_f16_e32 v54, v9, v10
	v_fmamk_f16 v40, v16, 0xbb9c, v17
	v_fmac_f16_e32 v17, 0x3b9c, v16
	v_fmamk_f16 v36, v21, 0xbb9c, v37
	v_fmac_f16_e32 v37, 0x3b9c, v21
	v_fmac_f16_e32 v5, 0x38b4, v16
	;; [unrolled: 1-line block ×3, first 2 shown]
	v_add_f16_e32 v7, v35, v22
	v_add_f16_e32 v9, v47, v33
	;; [unrolled: 1-line block ×4, first 2 shown]
	v_fmac_f16_e32 v39, 0x34f2, v23
	v_fmac_f16_e32 v42, 0x34f2, v31
	;; [unrolled: 1-line block ×5, first 2 shown]
	v_fmamk_f16 v43, v52, 0x3b9c, v0
	v_fmac_f16_e32 v0, 0xbb9c, v52
	v_fmac_f16_e32 v32, 0x34f2, v31
	;; [unrolled: 1-line block ×4, first 2 shown]
	v_add_f16_e32 v34, v45, v46
	v_fmac_f16_e32 v40, 0x38b4, v18
	v_fmac_f16_e32 v17, 0xb8b4, v18
	;; [unrolled: 1-line block ×5, first 2 shown]
	v_sub_f16_e32 v1, v7, v9
	v_sub_f16_e32 v8, v3, v4
	v_add_f16_e32 v7, v7, v9
	v_add_f16_e32 v3, v3, v4
	v_mul_f16_e32 v4, 0x3a79, v39
	v_mul_f16_e32 v9, 0x34f2, v42
	;; [unrolled: 1-line block ×5, first 2 shown]
	v_add_f16_e32 v38, v53, v54
	v_fmac_f16_e32 v43, 0xb8b4, v21
	v_fmac_f16_e32 v0, 0x38b4, v21
	v_mul_f16_e32 v21, 0x3b9c, v32
	v_mul_f16_e32 v19, 0x34f2, v41
	v_fmac_f16_e32 v36, 0xb8b4, v52
	v_mul_f16_e32 v18, 0x3a79, v6
	v_fmac_f16_e32 v40, 0x34f2, v27
	v_fmac_f16_e32 v17, 0x34f2, v27
	;; [unrolled: 1-line block ×3, first 2 shown]
	v_pack_b32_f16 v3, v3, v7
	v_fma_f16 v4, v6, 0xb8b4, -v4
	v_fma_f16 v6, v41, 0xbb9c, -v9
	v_fmac_f16_e32 v10, 0x34f2, v32
	v_fmac_f16_e32 v16, 0x3a79, v24
	;; [unrolled: 1-line block ×4, first 2 shown]
	v_pack_b32_f16 v1, v8, v1
	v_fmac_f16_e32 v21, 0x34f2, v2
	v_fmac_f16_e32 v43, 0x34f2, v38
	v_fma_f16 v8, v42, 0x3b9c, -v19
	v_fmac_f16_e32 v36, 0x34f2, v34
	v_fma_f16 v7, v39, 0x38b4, -v18
	global_store_dword v[11:12], v3, off
	global_store_dword v[11:12], v1, off offset:1360
	v_sub_f16_e32 v1, v5, v4
	v_sub_f16_e32 v2, v40, v6
	;; [unrolled: 1-line block ×4, first 2 shown]
	v_add_f16_e32 v4, v5, v4
	v_add_f16_e32 v5, v40, v6
	;; [unrolled: 1-line block ×5, first 2 shown]
	v_sub_f16_e32 v20, v0, v21
	v_add_f16_e32 v0, v0, v21
	v_sub_f16_e32 v19, v43, v8
	v_add_f16_e32 v8, v43, v8
	;; [unrolled: 2-line block ×3, first 2 shown]
	v_sub_f16_e32 v16, v37, v22
	v_pack_b32_f16 v10, v15, v10
	v_pack_b32_f16 v0, v0, v6
	;; [unrolled: 1-line block ×8, first 2 shown]
	global_store_dword v[11:12], v10, off offset:272
	global_store_dword v[11:12], v0, off offset:544
	;; [unrolled: 1-line block ×8, first 2 shown]
.LBB0_26:
	s_endpgm
	.section	.rodata,"a",@progbits
	.p2align	6, 0x0
	.amdhsa_kernel fft_rtc_fwd_len680_factors_17_4_10_wgs_204_tpt_68_halfLds_half_op_CI_CI_unitstride_sbrr_dirReg
		.amdhsa_group_segment_fixed_size 0
		.amdhsa_private_segment_fixed_size 0
		.amdhsa_kernarg_size 104
		.amdhsa_user_sgpr_count 6
		.amdhsa_user_sgpr_private_segment_buffer 1
		.amdhsa_user_sgpr_dispatch_ptr 0
		.amdhsa_user_sgpr_queue_ptr 0
		.amdhsa_user_sgpr_kernarg_segment_ptr 1
		.amdhsa_user_sgpr_dispatch_id 0
		.amdhsa_user_sgpr_flat_scratch_init 0
		.amdhsa_user_sgpr_private_segment_size 0
		.amdhsa_wavefront_size32 1
		.amdhsa_uses_dynamic_stack 0
		.amdhsa_system_sgpr_private_segment_wavefront_offset 0
		.amdhsa_system_sgpr_workgroup_id_x 1
		.amdhsa_system_sgpr_workgroup_id_y 0
		.amdhsa_system_sgpr_workgroup_id_z 0
		.amdhsa_system_sgpr_workgroup_info 0
		.amdhsa_system_vgpr_workitem_id 0
		.amdhsa_next_free_vgpr 101
		.amdhsa_next_free_sgpr 27
		.amdhsa_reserve_vcc 1
		.amdhsa_reserve_flat_scratch 0
		.amdhsa_float_round_mode_32 0
		.amdhsa_float_round_mode_16_64 0
		.amdhsa_float_denorm_mode_32 3
		.amdhsa_float_denorm_mode_16_64 3
		.amdhsa_dx10_clamp 1
		.amdhsa_ieee_mode 1
		.amdhsa_fp16_overflow 0
		.amdhsa_workgroup_processor_mode 1
		.amdhsa_memory_ordered 1
		.amdhsa_forward_progress 0
		.amdhsa_shared_vgpr_count 0
		.amdhsa_exception_fp_ieee_invalid_op 0
		.amdhsa_exception_fp_denorm_src 0
		.amdhsa_exception_fp_ieee_div_zero 0
		.amdhsa_exception_fp_ieee_overflow 0
		.amdhsa_exception_fp_ieee_underflow 0
		.amdhsa_exception_fp_ieee_inexact 0
		.amdhsa_exception_int_div_zero 0
	.end_amdhsa_kernel
	.text
.Lfunc_end0:
	.size	fft_rtc_fwd_len680_factors_17_4_10_wgs_204_tpt_68_halfLds_half_op_CI_CI_unitstride_sbrr_dirReg, .Lfunc_end0-fft_rtc_fwd_len680_factors_17_4_10_wgs_204_tpt_68_halfLds_half_op_CI_CI_unitstride_sbrr_dirReg
                                        ; -- End function
	.section	.AMDGPU.csdata,"",@progbits
; Kernel info:
; codeLenInByte = 10500
; NumSgprs: 29
; NumVgprs: 101
; ScratchSize: 0
; MemoryBound: 0
; FloatMode: 240
; IeeeMode: 1
; LDSByteSize: 0 bytes/workgroup (compile time only)
; SGPRBlocks: 3
; VGPRBlocks: 12
; NumSGPRsForWavesPerEU: 29
; NumVGPRsForWavesPerEU: 101
; Occupancy: 9
; WaveLimiterHint : 1
; COMPUTE_PGM_RSRC2:SCRATCH_EN: 0
; COMPUTE_PGM_RSRC2:USER_SGPR: 6
; COMPUTE_PGM_RSRC2:TRAP_HANDLER: 0
; COMPUTE_PGM_RSRC2:TGID_X_EN: 1
; COMPUTE_PGM_RSRC2:TGID_Y_EN: 0
; COMPUTE_PGM_RSRC2:TGID_Z_EN: 0
; COMPUTE_PGM_RSRC2:TIDIG_COMP_CNT: 0
	.text
	.p2alignl 6, 3214868480
	.fill 48, 4, 3214868480
	.type	__hip_cuid_e5eb432aaded58fd,@object ; @__hip_cuid_e5eb432aaded58fd
	.section	.bss,"aw",@nobits
	.globl	__hip_cuid_e5eb432aaded58fd
__hip_cuid_e5eb432aaded58fd:
	.byte	0                               ; 0x0
	.size	__hip_cuid_e5eb432aaded58fd, 1

	.ident	"AMD clang version 19.0.0git (https://github.com/RadeonOpenCompute/llvm-project roc-6.4.0 25133 c7fe45cf4b819c5991fe208aaa96edf142730f1d)"
	.section	".note.GNU-stack","",@progbits
	.addrsig
	.addrsig_sym __hip_cuid_e5eb432aaded58fd
	.amdgpu_metadata
---
amdhsa.kernels:
  - .args:
      - .actual_access:  read_only
        .address_space:  global
        .offset:         0
        .size:           8
        .value_kind:     global_buffer
      - .offset:         8
        .size:           8
        .value_kind:     by_value
      - .actual_access:  read_only
        .address_space:  global
        .offset:         16
        .size:           8
        .value_kind:     global_buffer
      - .actual_access:  read_only
        .address_space:  global
        .offset:         24
        .size:           8
        .value_kind:     global_buffer
      - .actual_access:  read_only
        .address_space:  global
        .offset:         32
        .size:           8
        .value_kind:     global_buffer
      - .offset:         40
        .size:           8
        .value_kind:     by_value
      - .actual_access:  read_only
        .address_space:  global
        .offset:         48
        .size:           8
        .value_kind:     global_buffer
      - .actual_access:  read_only
        .address_space:  global
        .offset:         56
        .size:           8
        .value_kind:     global_buffer
      - .offset:         64
        .size:           4
        .value_kind:     by_value
      - .actual_access:  read_only
        .address_space:  global
        .offset:         72
        .size:           8
        .value_kind:     global_buffer
      - .actual_access:  read_only
        .address_space:  global
        .offset:         80
        .size:           8
        .value_kind:     global_buffer
      - .actual_access:  read_only
        .address_space:  global
        .offset:         88
        .size:           8
        .value_kind:     global_buffer
      - .actual_access:  write_only
        .address_space:  global
        .offset:         96
        .size:           8
        .value_kind:     global_buffer
    .group_segment_fixed_size: 0
    .kernarg_segment_align: 8
    .kernarg_segment_size: 104
    .language:       OpenCL C
    .language_version:
      - 2
      - 0
    .max_flat_workgroup_size: 204
    .name:           fft_rtc_fwd_len680_factors_17_4_10_wgs_204_tpt_68_halfLds_half_op_CI_CI_unitstride_sbrr_dirReg
    .private_segment_fixed_size: 0
    .sgpr_count:     29
    .sgpr_spill_count: 0
    .symbol:         fft_rtc_fwd_len680_factors_17_4_10_wgs_204_tpt_68_halfLds_half_op_CI_CI_unitstride_sbrr_dirReg.kd
    .uniform_work_group_size: 1
    .uses_dynamic_stack: false
    .vgpr_count:     101
    .vgpr_spill_count: 0
    .wavefront_size: 32
    .workgroup_processor_mode: 1
amdhsa.target:   amdgcn-amd-amdhsa--gfx1030
amdhsa.version:
  - 1
  - 2
...

	.end_amdgpu_metadata
